;; amdgpu-corpus repo=ROCm/rocFFT kind=compiled arch=gfx950 opt=O3
	.text
	.amdgcn_target "amdgcn-amd-amdhsa--gfx950"
	.amdhsa_code_object_version 6
	.protected	fft_rtc_fwd_len330_factors_11_10_3_wgs_99_tpt_33_half_ip_CI_unitstride_sbrr_C2R_dirReg ; -- Begin function fft_rtc_fwd_len330_factors_11_10_3_wgs_99_tpt_33_half_ip_CI_unitstride_sbrr_C2R_dirReg
	.globl	fft_rtc_fwd_len330_factors_11_10_3_wgs_99_tpt_33_half_ip_CI_unitstride_sbrr_C2R_dirReg
	.p2align	8
	.type	fft_rtc_fwd_len330_factors_11_10_3_wgs_99_tpt_33_half_ip_CI_unitstride_sbrr_C2R_dirReg,@function
fft_rtc_fwd_len330_factors_11_10_3_wgs_99_tpt_33_half_ip_CI_unitstride_sbrr_C2R_dirReg: ; @fft_rtc_fwd_len330_factors_11_10_3_wgs_99_tpt_33_half_ip_CI_unitstride_sbrr_C2R_dirReg
; %bb.0:
	s_load_dwordx2 s[8:9], s[0:1], 0x50
	s_load_dwordx4 s[4:7], s[0:1], 0x0
	s_load_dwordx2 s[10:11], s[0:1], 0x18
	v_mul_u32_u24_e32 v1, 0x7c2, v0
	v_lshrrev_b32_e32 v2, 16, v1
	v_mad_u64_u32 v[2:3], s[2:3], s2, 3, v[2:3]
	v_mov_b32_e32 v6, 0
	v_mov_b32_e32 v3, v6
	s_waitcnt lgkmcnt(0)
	v_cmp_lt_u64_e64 s[2:3], s[6:7], 2
	s_and_b64 vcc, exec, s[2:3]
	v_mov_b64_e32 v[4:5], 0
	v_mov_b64_e32 v[10:11], v[2:3]
	s_cbranch_vccnz .LBB0_8
; %bb.1:
	s_load_dwordx2 s[2:3], s[0:1], 0x10
	s_add_u32 s12, s10, 8
	s_addc_u32 s13, s11, 0
	s_mov_b64 s[14:15], 1
	v_mov_b64_e32 v[4:5], 0
	s_waitcnt lgkmcnt(0)
	s_add_u32 s16, s2, 8
	s_addc_u32 s17, s3, 0
	v_mov_b64_e32 v[8:9], v[2:3]
.LBB0_2:                                ; =>This Inner Loop Header: Depth=1
	s_load_dwordx2 s[18:19], s[16:17], 0x0
                                        ; implicit-def: $vgpr10_vgpr11
	s_waitcnt lgkmcnt(0)
	v_or_b32_e32 v7, s19, v9
	v_cmp_ne_u64_e32 vcc, 0, v[6:7]
	s_and_saveexec_b64 s[2:3], vcc
	s_xor_b64 s[20:21], exec, s[2:3]
	s_cbranch_execz .LBB0_4
; %bb.3:                                ;   in Loop: Header=BB0_2 Depth=1
	v_cvt_f32_u32_e32 v1, s18
	v_cvt_f32_u32_e32 v3, s19
	s_sub_u32 s2, 0, s18
	s_subb_u32 s3, 0, s19
	v_fmac_f32_e32 v1, 0x4f800000, v3
	v_rcp_f32_e32 v1, v1
	s_nop 0
	v_mul_f32_e32 v1, 0x5f7ffffc, v1
	v_mul_f32_e32 v3, 0x2f800000, v1
	v_trunc_f32_e32 v3, v3
	v_fmac_f32_e32 v1, 0xcf800000, v3
	v_cvt_u32_f32_e32 v3, v3
	v_cvt_u32_f32_e32 v1, v1
	v_mul_lo_u32 v7, s2, v3
	v_mul_hi_u32 v10, s2, v1
	v_mul_lo_u32 v11, s3, v1
	v_add_u32_e32 v7, v10, v7
	v_mul_lo_u32 v14, s2, v1
	v_add_u32_e32 v7, v7, v11
	v_mul_hi_u32 v10, v1, v14
	v_mul_hi_u32 v13, v1, v7
	v_mul_lo_u32 v12, v1, v7
	v_mov_b32_e32 v11, v6
	v_lshl_add_u64 v[10:11], v[10:11], 0, v[12:13]
	v_mul_hi_u32 v13, v3, v14
	v_mul_lo_u32 v14, v3, v14
	v_add_co_u32_e32 v10, vcc, v10, v14
	v_mul_hi_u32 v12, v3, v7
	s_nop 0
	v_addc_co_u32_e32 v10, vcc, v11, v13, vcc
	v_mov_b32_e32 v11, v6
	s_nop 0
	v_addc_co_u32_e32 v13, vcc, 0, v12, vcc
	v_mul_lo_u32 v12, v3, v7
	v_lshl_add_u64 v[10:11], v[10:11], 0, v[12:13]
	v_add_co_u32_e32 v1, vcc, v1, v10
	v_mul_hi_u32 v10, s2, v1
	s_nop 0
	v_addc_co_u32_e32 v3, vcc, v3, v11, vcc
	v_mul_lo_u32 v7, s2, v3
	v_add_u32_e32 v7, v10, v7
	v_mul_lo_u32 v10, s3, v1
	v_add_u32_e32 v7, v7, v10
	v_mul_lo_u32 v12, s2, v1
	v_mul_hi_u32 v15, v3, v12
	v_mul_lo_u32 v16, v3, v12
	v_mul_hi_u32 v11, v1, v7
	;; [unrolled: 2-line block ×3, first 2 shown]
	v_mov_b32_e32 v13, v6
	v_lshl_add_u64 v[10:11], v[12:13], 0, v[10:11]
	v_add_co_u32_e32 v10, vcc, v10, v16
	v_mul_hi_u32 v14, v3, v7
	s_nop 0
	v_addc_co_u32_e32 v10, vcc, v11, v15, vcc
	v_mul_lo_u32 v12, v3, v7
	s_nop 0
	v_addc_co_u32_e32 v13, vcc, 0, v14, vcc
	v_mov_b32_e32 v11, v6
	v_lshl_add_u64 v[10:11], v[10:11], 0, v[12:13]
	v_add_co_u32_e32 v1, vcc, v1, v10
	v_mul_hi_u32 v12, v8, v1
	s_nop 0
	v_addc_co_u32_e32 v3, vcc, v3, v11, vcc
	v_mad_u64_u32 v[10:11], s[2:3], v8, v3, 0
	v_mov_b32_e32 v13, v6
	v_lshl_add_u64 v[10:11], v[12:13], 0, v[10:11]
	v_mad_u64_u32 v[14:15], s[2:3], v9, v1, 0
	v_add_co_u32_e32 v1, vcc, v10, v14
	v_mad_u64_u32 v[12:13], s[2:3], v9, v3, 0
	s_nop 0
	v_addc_co_u32_e32 v10, vcc, v11, v15, vcc
	v_mov_b32_e32 v11, v6
	s_nop 0
	v_addc_co_u32_e32 v13, vcc, 0, v13, vcc
	v_lshl_add_u64 v[10:11], v[10:11], 0, v[12:13]
	v_mul_lo_u32 v1, s19, v10
	v_mul_lo_u32 v3, s18, v11
	v_mad_u64_u32 v[12:13], s[2:3], s18, v10, 0
	v_add3_u32 v1, v13, v3, v1
	v_sub_u32_e32 v3, v9, v1
	v_mov_b32_e32 v7, s19
	v_sub_co_u32_e32 v16, vcc, v8, v12
	v_lshl_add_u64 v[14:15], v[10:11], 0, 1
	s_nop 0
	v_subb_co_u32_e64 v3, s[2:3], v3, v7, vcc
	v_subrev_co_u32_e64 v7, s[2:3], s18, v16
	v_subb_co_u32_e32 v1, vcc, v9, v1, vcc
	s_nop 0
	v_subbrev_co_u32_e64 v3, s[2:3], 0, v3, s[2:3]
	v_cmp_le_u32_e64 s[2:3], s19, v3
	v_cmp_le_u32_e32 vcc, s19, v1
	s_nop 0
	v_cndmask_b32_e64 v12, 0, -1, s[2:3]
	v_cmp_le_u32_e64 s[2:3], s18, v7
	s_nop 1
	v_cndmask_b32_e64 v7, 0, -1, s[2:3]
	v_cmp_eq_u32_e64 s[2:3], s19, v3
	s_nop 1
	v_cndmask_b32_e64 v3, v12, v7, s[2:3]
	v_lshl_add_u64 v[12:13], v[10:11], 0, 2
	v_cmp_ne_u32_e64 s[2:3], 0, v3
	v_cndmask_b32_e64 v7, 0, -1, vcc
	v_cmp_le_u32_e32 vcc, s18, v16
	v_cndmask_b32_e64 v3, v15, v13, s[2:3]
	s_nop 0
	v_cndmask_b32_e64 v13, 0, -1, vcc
	v_cmp_eq_u32_e32 vcc, s19, v1
	s_nop 1
	v_cndmask_b32_e32 v1, v7, v13, vcc
	v_cmp_ne_u32_e32 vcc, 0, v1
	v_cndmask_b32_e64 v1, v14, v12, s[2:3]
	s_nop 0
	v_cndmask_b32_e32 v11, v11, v3, vcc
	v_cndmask_b32_e32 v10, v10, v1, vcc
.LBB0_4:                                ;   in Loop: Header=BB0_2 Depth=1
	s_andn2_saveexec_b64 s[2:3], s[20:21]
	s_cbranch_execz .LBB0_6
; %bb.5:                                ;   in Loop: Header=BB0_2 Depth=1
	v_cvt_f32_u32_e32 v1, s18
	s_sub_i32 s20, 0, s18
	v_mov_b32_e32 v11, v6
	v_rcp_iflag_f32_e32 v1, v1
	s_nop 0
	v_mul_f32_e32 v1, 0x4f7ffffe, v1
	v_cvt_u32_f32_e32 v1, v1
	v_mul_lo_u32 v3, s20, v1
	v_mul_hi_u32 v3, v1, v3
	v_add_u32_e32 v1, v1, v3
	v_mul_hi_u32 v1, v8, v1
	v_mul_lo_u32 v3, v1, s18
	v_sub_u32_e32 v3, v8, v3
	v_add_u32_e32 v7, 1, v1
	v_subrev_u32_e32 v10, s18, v3
	v_cmp_le_u32_e32 vcc, s18, v3
	s_nop 1
	v_cndmask_b32_e32 v3, v3, v10, vcc
	v_cndmask_b32_e32 v1, v1, v7, vcc
	v_add_u32_e32 v7, 1, v1
	v_cmp_le_u32_e32 vcc, s18, v3
	s_nop 1
	v_cndmask_b32_e32 v10, v1, v7, vcc
.LBB0_6:                                ;   in Loop: Header=BB0_2 Depth=1
	s_or_b64 exec, exec, s[2:3]
	v_mad_u64_u32 v[12:13], s[2:3], v10, s18, 0
	s_load_dwordx2 s[2:3], s[12:13], 0x0
	s_add_u32 s14, s14, 1
	v_mul_lo_u32 v1, v11, s18
	v_mul_lo_u32 v3, v10, s19
	s_addc_u32 s15, s15, 0
	v_add3_u32 v1, v13, v3, v1
	v_sub_co_u32_e32 v3, vcc, v8, v12
	s_add_u32 s12, s12, 8
	s_nop 0
	v_subb_co_u32_e32 v1, vcc, v9, v1, vcc
	s_addc_u32 s13, s13, 0
	v_mov_b64_e32 v[8:9], s[6:7]
	s_waitcnt lgkmcnt(0)
	v_mul_lo_u32 v1, s2, v1
	v_mul_lo_u32 v7, s3, v3
	v_mad_u64_u32 v[4:5], s[2:3], s2, v3, v[4:5]
	s_add_u32 s16, s16, 8
	v_cmp_ge_u64_e32 vcc, s[14:15], v[8:9]
	v_add3_u32 v5, v7, v5, v1
	s_addc_u32 s17, s17, 0
	s_cbranch_vccnz .LBB0_8
; %bb.7:                                ;   in Loop: Header=BB0_2 Depth=1
	v_mov_b64_e32 v[8:9], v[10:11]
	s_branch .LBB0_2
.LBB0_8:
	s_lshl_b64 s[2:3], s[6:7], 3
	s_add_u32 s2, s10, s2
	s_addc_u32 s3, s11, s3
	s_load_dwordx2 s[6:7], s[2:3], 0x0
	s_load_dwordx2 s[10:11], s[0:1], 0x20
	s_waitcnt lgkmcnt(0)
	v_mad_u64_u32 v[4:5], s[0:1], s6, v10, v[4:5]
	v_mul_lo_u32 v1, s6, v11
	v_mul_lo_u32 v3, s7, v10
	s_mov_b32 s0, 0xaaaaaaab
	v_add3_u32 v5, v3, v5, v1
	v_mul_hi_u32 v1, v2, s0
	v_lshrrev_b32_e32 v1, 1, v1
	v_lshl_add_u32 v1, v1, 1, v1
	v_sub_u32_e32 v1, v2, v1
	s_mov_b32 s0, 0x7c1f07d
	v_mul_u32_u24_e32 v6, 0x14b, v1
	v_mul_hi_u32 v1, v0, s0
	v_mul_u32_u24_e32 v1, 33, v1
	v_cmp_gt_u64_e32 vcc, s[10:11], v[10:11]
	v_sub_u32_e32 v2, v0, v1
	v_lshl_add_u64 v[0:1], v[4:5], 2, s[8:9]
	v_lshlrev_b32_e32 v17, 2, v6
	s_and_saveexec_b64 s[2:3], vcc
	s_cbranch_execz .LBB0_12
; %bb.9:
	v_mov_b32_e32 v3, 0
	v_lshl_add_u64 v[4:5], v[2:3], 2, v[0:1]
	global_load_dword v7, v[4:5], off
	global_load_dword v8, v[4:5], off offset:132
	global_load_dword v9, v[4:5], off offset:264
	;; [unrolled: 1-line block ×9, first 2 shown]
	v_lshlrev_b32_e32 v3, 2, v2
	v_add3_u32 v3, 0, v17, v3
	v_cmp_eq_u32_e64 s[0:1], 32, v2
	v_add_u32_e32 v4, 0x400, v3
	s_waitcnt vmcnt(8)
	ds_write2_b32 v3, v7, v8 offset1:33
	s_waitcnt vmcnt(6)
	ds_write2_b32 v3, v9, v10 offset0:66 offset1:99
	s_waitcnt vmcnt(4)
	ds_write2_b32 v3, v11, v12 offset0:132 offset1:165
	;; [unrolled: 2-line block ×4, first 2 shown]
	s_and_saveexec_b64 s[6:7], s[0:1]
	s_cbranch_execz .LBB0_11
; %bb.10:
	global_load_dword v2, v[0:1], off offset:1320
	s_waitcnt vmcnt(0)
	ds_write_b32 v3, v2 offset:1192
	v_mov_b32_e32 v2, 32
.LBB0_11:
	s_or_b64 exec, exec, s[6:7]
.LBB0_12:
	s_or_b64 exec, exec, s[2:3]
	v_lshl_add_u32 v16, v6, 2, 0
	v_lshlrev_b32_e32 v3, 2, v2
	v_add_u32_e32 v18, v16, v3
	s_waitcnt lgkmcnt(0)
	s_barrier
	v_sub_u32_e32 v7, v16, v3
	ds_read_u16 v10, v18
	ds_read_u16 v11, v7 offset:1320
	v_cmp_ne_u32_e64 s[0:1], 0, v2
                                        ; implicit-def: $vgpr4_vgpr5
	s_waitcnt lgkmcnt(0)
	v_add_f16_e32 v8, v11, v10
	v_sub_f16_e32 v9, v10, v11
	s_and_saveexec_b64 s[2:3], s[0:1]
	s_xor_b64 s[0:1], exec, s[2:3]
	s_cbranch_execz .LBB0_14
; %bb.13:
	v_mov_b32_e32 v3, 0
	v_lshl_add_u64 v[4:5], v[2:3], 2, s[4:5]
	global_load_dword v4, v[4:5], off offset:1276
	ds_read_u16 v5, v7 offset:1322
	ds_read_u16 v8, v18 offset:2
	v_add_f16_e32 v9, v11, v10
	v_sub_f16_e32 v10, v10, v11
	s_waitcnt lgkmcnt(0)
	v_add_f16_e32 v11, v5, v8
	v_sub_f16_e32 v5, v8, v5
	s_waitcnt vmcnt(0)
	v_lshrrev_b32_e32 v8, 16, v4
	v_fma_f16 v12, v10, v8, v9
	v_fma_f16 v13, v11, v8, v5
	v_fma_f16 v14, -v10, v8, v9
	v_fma_f16 v5, v11, v8, -v5
	v_fma_f16 v8, -v4, v11, v12
	v_fma_f16 v9, v10, v4, v13
	v_fma_f16 v11, v4, v11, v14
	;; [unrolled: 1-line block ×3, first 2 shown]
	v_pack_b32_f16 v4, v11, v4
	ds_write_b32 v7, v4 offset:1320
	v_mov_b64_e32 v[4:5], v[2:3]
.LBB0_14:
	s_andn2_saveexec_b64 s[0:1], s[0:1]
	s_cbranch_execz .LBB0_16
; %bb.15:
	ds_read_b32 v3, v16 offset:660
	s_mov_b32 s2, 0xc0004000
	v_mov_b64_e32 v[4:5], 0
	s_waitcnt lgkmcnt(0)
	v_pk_mul_f16 v3, v3, s2
	ds_write_b32 v16, v3 offset:660
.LBB0_16:
	s_or_b64 exec, exec, s[0:1]
	s_add_u32 s0, s4, 0x4fc
	s_addc_u32 s1, s5, 0
	v_lshl_add_u64 v[4:5], v[4:5], 2, s[0:1]
	global_load_dword v3, v[4:5], off offset:132
	global_load_dword v10, v[4:5], off offset:264
	;; [unrolled: 1-line block ×4, first 2 shown]
	s_mov_b32 s6, 0x5040100
	v_perm_b32 v4, v9, v8, s6
	ds_write_b32 v18, v4
	ds_read_b32 v4, v18 offset:132
	ds_read_b32 v5, v7 offset:1188
	s_movk_i32 s7, 0x3abb
	s_movk_i32 s8, 0x36a6
	s_mov_b32 s9, 0xb08e
	s_mov_b32 s10, 0xb93d
	s_waitcnt lgkmcnt(0)
	v_add_f16_e32 v8, v4, v5
	v_add_f16_sdwa v9, v5, v4 dst_sel:DWORD dst_unused:UNUSED_PAD src0_sel:WORD_1 src1_sel:WORD_1
	v_sub_f16_e32 v13, v4, v5
	v_sub_f16_sdwa v4, v4, v5 dst_sel:DWORD dst_unused:UNUSED_PAD src0_sel:WORD_1 src1_sel:WORD_1
	s_mov_b32 s11, 0xbbad
	v_cmp_gt_u32_e64 s[0:1], 30, v2
	s_waitcnt vmcnt(3)
	v_lshrrev_b32_e32 v5, 16, v3
	v_fma_f16 v14, v13, v5, v8
	v_fma_f16 v15, v9, v5, v4
	v_fma_f16 v8, -v13, v5, v8
	v_fma_f16 v4, v9, v5, -v4
	v_fma_f16 v5, -v3, v9, v14
	v_fma_f16 v14, v13, v3, v15
	v_fma_f16 v8, v3, v9, v8
	;; [unrolled: 1-line block ×3, first 2 shown]
	v_pack_b32_f16 v4, v5, v14
	v_pack_b32_f16 v3, v8, v3
	ds_write_b32 v18, v4 offset:132
	ds_write_b32 v7, v3 offset:1188
	ds_read_b32 v3, v18 offset:264
	ds_read_b32 v4, v7 offset:1056
	s_waitcnt vmcnt(2)
	v_lshrrev_b32_e32 v5, 16, v10
	s_waitcnt lgkmcnt(0)
	v_add_f16_e32 v8, v3, v4
	v_add_f16_sdwa v9, v4, v3 dst_sel:DWORD dst_unused:UNUSED_PAD src0_sel:WORD_1 src1_sel:WORD_1
	v_sub_f16_e32 v13, v3, v4
	v_sub_f16_sdwa v3, v3, v4 dst_sel:DWORD dst_unused:UNUSED_PAD src0_sel:WORD_1 src1_sel:WORD_1
	v_fma_f16 v4, v13, v5, v8
	v_fma_f16 v14, v9, v5, v3
	v_fma_f16 v8, -v13, v5, v8
	v_fma_f16 v3, v9, v5, -v3
	v_fma_f16 v4, -v10, v9, v4
	v_fma_f16 v5, v13, v10, v14
	v_fma_f16 v8, v10, v9, v8
	;; [unrolled: 1-line block ×3, first 2 shown]
	v_pack_b32_f16 v4, v4, v5
	v_pack_b32_f16 v3, v8, v3
	ds_write_b32 v18, v4 offset:264
	ds_write_b32 v7, v3 offset:1056
	ds_read_b32 v3, v18 offset:396
	ds_read_b32 v5, v7 offset:924
	s_waitcnt vmcnt(1)
	v_lshrrev_b32_e32 v8, 16, v11
	v_lshl_add_u32 v4, v2, 2, 0
	s_waitcnt lgkmcnt(0)
	v_add_f16_e32 v9, v3, v5
	v_add_f16_sdwa v10, v5, v3 dst_sel:DWORD dst_unused:UNUSED_PAD src0_sel:WORD_1 src1_sel:WORD_1
	v_sub_f16_e32 v13, v3, v5
	v_sub_f16_sdwa v3, v3, v5 dst_sel:DWORD dst_unused:UNUSED_PAD src0_sel:WORD_1 src1_sel:WORD_1
	v_fma_f16 v5, v13, v8, v9
	v_fma_f16 v14, v10, v8, v3
	v_fma_f16 v9, -v13, v8, v9
	v_fma_f16 v3, v10, v8, -v3
	v_fma_f16 v5, -v11, v10, v5
	v_fma_f16 v8, v13, v11, v14
	v_fma_f16 v9, v11, v10, v9
	;; [unrolled: 1-line block ×3, first 2 shown]
	v_pack_b32_f16 v5, v5, v8
	v_pack_b32_f16 v3, v9, v3
	ds_write_b32 v18, v5 offset:396
	ds_write_b32 v7, v3 offset:924
	ds_read_b32 v5, v18 offset:528
	ds_read_b32 v8, v7 offset:792
	s_waitcnt vmcnt(0)
	v_lshrrev_b32_e32 v9, 16, v12
	v_lshl_add_u32 v3, v6, 2, v4
	v_add_u32_e32 v6, 0x400, v3
	s_waitcnt lgkmcnt(0)
	v_add_f16_e32 v10, v5, v8
	v_add_f16_sdwa v11, v8, v5 dst_sel:DWORD dst_unused:UNUSED_PAD src0_sel:WORD_1 src1_sel:WORD_1
	v_sub_f16_e32 v13, v5, v8
	v_sub_f16_sdwa v5, v5, v8 dst_sel:DWORD dst_unused:UNUSED_PAD src0_sel:WORD_1 src1_sel:WORD_1
	v_fma_f16 v8, v13, v9, v10
	v_fma_f16 v14, v11, v9, v5
	v_fma_f16 v10, -v13, v9, v10
	v_fma_f16 v5, v11, v9, -v5
	v_fma_f16 v8, -v12, v11, v8
	v_fma_f16 v9, v13, v12, v14
	v_fma_f16 v10, v12, v11, v10
	v_fma_f16 v5, v13, v12, v5
	v_pack_b32_f16 v8, v8, v9
	v_pack_b32_f16 v5, v10, v5
	ds_write_b32 v18, v8 offset:528
	ds_write_b32 v7, v5 offset:792
	s_waitcnt lgkmcnt(0)
	s_barrier
	s_barrier
	ds_read2_b32 v[14:15], v3 offset0:30 offset1:60
	ds_read2_b32 v[6:7], v6 offset0:14 offset1:44
	ds_read_b32 v20, v18
	ds_read2_b32 v[12:13], v3 offset0:90 offset1:120
	ds_read2_b32 v[10:11], v3 offset0:150 offset1:180
	;; [unrolled: 1-line block ×3, first 2 shown]
	s_waitcnt lgkmcnt(4)
	v_sub_f16_sdwa v35, v14, v7 dst_sel:DWORD dst_unused:UNUSED_PAD src0_sel:WORD_1 src1_sel:WORD_1
	v_add_f16_e32 v21, v7, v14
	v_sub_f16_e32 v42, v14, v7
	v_sub_f16_sdwa v38, v15, v6 dst_sel:DWORD dst_unused:UNUSED_PAD src0_sel:WORD_1 src1_sel:WORD_1
	v_mul_f16_e32 v31, 0xb853, v35
	v_add_f16_sdwa v24, v7, v14 dst_sel:DWORD dst_unused:UNUSED_PAD src0_sel:WORD_1 src1_sel:WORD_1
	v_add_f16_e32 v22, v6, v15
	v_sub_f16_e32 v43, v15, v6
	s_waitcnt lgkmcnt(0)
	v_sub_f16_sdwa v41, v12, v9 dst_sel:DWORD dst_unused:UNUSED_PAD src0_sel:WORD_1 src1_sel:WORD_1
	v_mul_f16_e32 v36, 0xb853, v42
	v_mul_f16_e32 v32, 0xbb47, v38
	v_fma_f16 v5, v21, s7, v31
	v_add_f16_sdwa v25, v6, v15 dst_sel:DWORD dst_unused:UNUSED_PAD src0_sel:WORD_1 src1_sel:WORD_1
	v_add_f16_e32 v23, v9, v12
	v_sub_f16_e32 v45, v12, v9
	v_mul_f16_e32 v37, 0xbb47, v43
	v_fma_f16 v19, v24, s7, -v36
	v_fma_f16 v27, v22, s8, v32
	v_add_f16_e32 v5, v20, v5
	v_mul_f16_e32 v33, 0xbbeb, v41
	v_add_f16_sdwa v26, v9, v12 dst_sel:DWORD dst_unused:UNUSED_PAD src0_sel:WORD_1 src1_sel:WORD_1
	v_fma_f16 v28, v25, s8, -v37
	v_add_f16_sdwa v19, v20, v19 dst_sel:DWORD dst_unused:UNUSED_PAD src0_sel:WORD_1 src1_sel:DWORD
	v_add_f16_e32 v5, v27, v5
	v_mul_f16_e32 v39, 0xbbeb, v45
	v_fma_f16 v27, v23, s9, v33
	v_add_f16_e32 v19, v28, v19
	v_add_f16_e32 v5, v27, v5
	v_fma_f16 v27, v26, s9, -v39
	v_sub_f16_sdwa v47, v13, v8 dst_sel:DWORD dst_unused:UNUSED_PAD src0_sel:WORD_1 src1_sel:WORD_1
	v_add_f16_e32 v19, v27, v19
	v_add_f16_e32 v27, v8, v13
	v_sub_f16_e32 v49, v13, v8
	v_mul_f16_e32 v34, 0xba0c, v47
	v_add_f16_sdwa v29, v8, v13 dst_sel:DWORD dst_unused:UNUSED_PAD src0_sel:WORD_1 src1_sel:WORD_1
	v_mul_f16_e32 v44, 0xba0c, v49
	v_fma_f16 v28, v27, s10, v34
	v_add_f16_e32 v5, v28, v5
	v_fma_f16 v28, v29, s10, -v44
	v_sub_f16_sdwa v48, v10, v11 dst_sel:DWORD dst_unused:UNUSED_PAD src0_sel:WORD_1 src1_sel:WORD_1
	v_add_f16_e32 v19, v28, v19
	v_add_f16_e32 v28, v11, v10
	v_sub_f16_e32 v50, v10, v11
	v_mul_f16_e32 v40, 0xb482, v48
	v_add_f16_sdwa v30, v11, v10 dst_sel:DWORD dst_unused:UNUSED_PAD src0_sel:WORD_1 src1_sel:WORD_1
	v_mul_f16_e32 v46, 0xb482, v50
	v_fma_f16 v51, v28, s11, v40
	v_add_f16_e32 v5, v51, v5
	v_fma_f16 v51, v30, s11, -v46
	v_add_f16_e32 v19, v51, v19
	s_barrier
	s_and_saveexec_b64 s[2:3], s[0:1]
	s_cbranch_execz .LBB0_18
; %bb.17:
	v_mul_f16_e32 v51, 0xb482, v42
	v_fma_f16 v52, v24, s11, v51
	v_mul_f16_e32 v53, 0x3853, v43
	v_add_f16_sdwa v52, v20, v52 dst_sel:DWORD dst_unused:UNUSED_PAD src0_sel:WORD_1 src1_sel:DWORD
	v_fma_f16 v54, v25, s7, v53
	v_add_f16_e32 v52, v54, v52
	v_mul_f16_e32 v54, 0xba0c, v45
	v_fma_f16 v55, v26, s10, v54
	v_add_f16_e32 v52, v55, v52
	v_mul_f16_e32 v55, 0x3b47, v49
	;; [unrolled: 3-line block ×4, first 2 shown]
	v_fma_f16 v58, v21, s11, -v57
	v_mul_f16_e32 v59, 0x3853, v38
	v_add_f16_e32 v58, v20, v58
	v_fma_f16 v60, v22, s7, -v59
	v_add_f16_e32 v58, v60, v58
	v_mul_f16_e32 v60, 0xba0c, v41
	v_fma_f16 v61, v23, s10, -v60
	v_add_f16_e32 v58, v61, v58
	v_add_f16_e32 v61, v20, v14
	v_add_f16_sdwa v14, v20, v14 dst_sel:DWORD dst_unused:UNUSED_PAD src0_sel:WORD_1 src1_sel:WORD_1
	v_add_f16_e32 v61, v61, v15
	v_add_f16_sdwa v14, v14, v15 dst_sel:DWORD dst_unused:UNUSED_PAD src0_sel:DWORD src1_sel:WORD_1
	v_add_f16_e32 v61, v61, v12
	v_add_f16_sdwa v12, v14, v12 dst_sel:DWORD dst_unused:UNUSED_PAD src0_sel:DWORD src1_sel:WORD_1
	;; [unrolled: 2-line block ×3, first 2 shown]
	v_mul_f16_e32 v15, 0x3b47, v47
	v_mul_f16_e32 v13, 0xba0c, v42
	v_add_f16_e32 v61, v61, v10
	v_add_f16_sdwa v10, v12, v10 dst_sel:DWORD dst_unused:UNUSED_PAD src0_sel:DWORD src1_sel:WORD_1
	v_fma_f16 v62, v27, s8, -v15
	v_fma_f16 v14, v24, s10, v13
	v_add_f16_e32 v61, v61, v11
	v_add_f16_sdwa v10, v10, v11 dst_sel:DWORD dst_unused:UNUSED_PAD src0_sel:DWORD src1_sel:WORD_1
	v_mul_f16_e32 v11, 0x3beb, v43
	v_add_f16_e32 v58, v62, v58
	v_mul_f16_e32 v62, 0xbbeb, v48
	v_add_f16_sdwa v14, v20, v14 dst_sel:DWORD dst_unused:UNUSED_PAD src0_sel:WORD_1 src1_sel:DWORD
	v_fma_f16 v12, v25, s9, v11
	v_fma_f16 v63, v28, s9, -v62
	v_add_f16_e32 v12, v12, v14
	v_mul_f16_e32 v14, 0xb853, v45
	v_add_f16_e32 v61, v61, v8
	v_add_f16_sdwa v8, v10, v8 dst_sel:DWORD dst_unused:UNUSED_PAD src0_sel:DWORD src1_sel:WORD_1
	v_add_f16_e32 v58, v63, v58
	v_fma_f16 v63, v26, s7, v14
	v_add_f16_e32 v61, v61, v9
	v_add_f16_sdwa v8, v8, v9 dst_sel:DWORD dst_unused:UNUSED_PAD src0_sel:DWORD src1_sel:WORD_1
	v_mul_f16_e32 v9, 0xb482, v49
	v_add_f16_e32 v12, v63, v12
	v_fma_f16 v10, v29, s11, v9
	v_add_f16_e32 v10, v10, v12
	v_mul_f16_e32 v12, 0x3b47, v50
	v_add_f16_e32 v61, v61, v6
	v_add_f16_sdwa v6, v8, v6 dst_sel:DWORD dst_unused:UNUSED_PAD src0_sel:DWORD src1_sel:WORD_1
	v_fma_f16 v63, v30, s8, v12
	v_add_f16_e32 v61, v61, v7
	v_add_f16_sdwa v6, v6, v7 dst_sel:DWORD dst_unused:UNUSED_PAD src0_sel:DWORD src1_sel:WORD_1
	v_mul_f16_e32 v7, 0xba0c, v35
	v_add_f16_e32 v10, v63, v10
	v_fma_f16 v8, v21, s10, -v7
	v_mul_f16_e32 v63, 0x3beb, v38
	v_add_f16_e32 v8, v20, v8
	v_fma_f16 v64, v22, s9, -v63
	v_add_f16_e32 v8, v64, v8
	v_mul_f16_e32 v64, 0xb853, v41
	v_fma_f16 v65, v23, s7, -v64
	v_add_f16_e32 v8, v65, v8
	v_mul_f16_e32 v65, 0xb482, v47
	v_fma_f16 v66, v27, s11, -v65
	v_add_f16_e32 v8, v66, v8
	v_mul_f16_e32 v66, 0x3b47, v48
	v_fma_f16 v67, v28, s8, -v66
	v_add_f16_e32 v8, v67, v8
	v_mul_f16_e32 v67, 0xbbeb, v42
	v_fma_f16 v68, v24, s9, v67
	v_mul_f16_e32 v69, 0x3482, v43
	v_add_f16_sdwa v68, v20, v68 dst_sel:DWORD dst_unused:UNUSED_PAD src0_sel:WORD_1 src1_sel:DWORD
	v_fma_f16 v70, v25, s11, v69
	v_add_f16_e32 v68, v70, v68
	v_mul_f16_e32 v70, 0x3b47, v45
	v_fma_f16 v71, v26, s8, v70
	v_add_f16_e32 v68, v71, v68
	v_mul_f16_e32 v71, 0xb853, v49
	;; [unrolled: 3-line block ×4, first 2 shown]
	v_fma_f16 v74, v21, s9, -v73
	v_mul_f16_e32 v75, 0x3482, v38
	v_add_f16_e32 v74, v20, v74
	v_fma_f16 v76, v22, s11, -v75
	v_add_f16_e32 v74, v76, v74
	v_mul_f16_e32 v76, 0x3b47, v41
	v_fma_f16 v77, v23, s8, -v76
	v_add_f16_e32 v74, v77, v74
	v_mul_f16_e32 v77, 0xb853, v47
	;; [unrolled: 3-line block ×3, first 2 shown]
	v_fma_f16 v79, v28, s10, -v78
	v_mul_f16_e32 v42, 0xbb47, v42
	v_add_f16_e32 v74, v79, v74
	v_fma_f16 v79, v24, s8, v42
	v_mul_f16_e32 v43, 0xba0c, v43
	v_add_f16_sdwa v79, v20, v79 dst_sel:DWORD dst_unused:UNUSED_PAD src0_sel:WORD_1 src1_sel:DWORD
	v_fma_f16 v80, v25, s10, v43
	v_mul_f16_e32 v45, 0x3482, v45
	v_add_f16_e32 v79, v80, v79
	v_fma_f16 v80, v26, s11, v45
	v_mul_f16_e32 v49, 0x3beb, v49
	v_add_f16_e32 v79, v80, v79
	;; [unrolled: 3-line block ×4, first 2 shown]
	v_fma_f16 v80, v21, s8, -v35
	v_mul_f16_e32 v38, 0xba0c, v38
	v_add_f16_e32 v80, v20, v80
	v_fma_f16 v81, v22, s10, -v38
	v_mul_f16_e32 v41, 0x3482, v41
	v_add_f16_e32 v80, v81, v80
	;; [unrolled: 3-line block ×4, first 2 shown]
	v_fma_f16 v81, v28, s7, -v48
	v_fma_f16 v13, v24, s10, -v13
	v_add_f16_e32 v80, v81, v80
	v_mul_f16_e32 v81, 0x3abb, v24
	v_add_f16_sdwa v13, v20, v13 dst_sel:DWORD dst_unused:UNUSED_PAD src0_sel:WORD_1 src1_sel:DWORD
	v_fma_f16 v11, v25, s9, -v11
	v_add_f16_e32 v36, v36, v81
	v_mul_f16_e32 v81, 0x36a6, v25
	v_add_f16_e32 v11, v11, v13
	v_fma_f16 v13, v26, s7, -v14
	v_add_f16_e32 v37, v37, v81
	v_add_f16_sdwa v36, v20, v36 dst_sel:DWORD dst_unused:UNUSED_PAD src0_sel:WORD_1 src1_sel:DWORD
	v_add_f16_e32 v11, v13, v11
	v_fma_f16 v9, v29, s11, -v9
	v_add_f16_e32 v36, v37, v36
	v_mul_f16_e32 v37, 0xb08e, v26
	v_add_f16_e32 v9, v9, v11
	v_fma_f16 v11, v30, s8, -v12
	v_fma_f16 v7, v21, s10, v7
	v_add_f16_e32 v37, v39, v37
	v_add_f16_e32 v9, v11, v9
	v_add_f16_e32 v7, v20, v7
	v_fma_f16 v11, v22, s9, v63
	v_add_f16_e32 v36, v37, v36
	v_mul_f16_e32 v37, 0xb93d, v29
	v_add_f16_e32 v7, v11, v7
	v_fma_f16 v11, v23, s7, v64
	v_add_f16_e32 v37, v44, v37
	v_add_f16_e32 v7, v11, v7
	v_fma_f16 v11, v27, s11, v65
	v_add_f16_e32 v36, v37, v36
	v_mul_f16_e32 v37, 0xbbad, v30
	v_add_f16_e32 v7, v11, v7
	v_fma_f16 v11, v28, s8, v66
	v_add_f16_e32 v37, v46, v37
	v_add_f16_e32 v7, v11, v7
	v_fma_f16 v11, v24, s9, -v67
	v_add_f16_e32 v36, v37, v36
	v_mul_f16_e32 v37, 0x3abb, v21
	v_add_f16_sdwa v11, v20, v11 dst_sel:DWORD dst_unused:UNUSED_PAD src0_sel:WORD_1 src1_sel:DWORD
	v_fma_f16 v12, v25, s11, -v69
	v_sub_f16_e32 v31, v37, v31
	v_mul_f16_e32 v37, 0x36a6, v22
	v_add_f16_e32 v11, v12, v11
	v_fma_f16 v12, v26, s8, -v70
	v_sub_f16_e32 v32, v37, v32
	v_add_f16_e32 v31, v20, v31
	v_add_f16_e32 v11, v12, v11
	v_fma_f16 v12, v29, s7, -v71
	v_add_f16_e32 v31, v32, v31
	v_mul_f16_e32 v32, 0xb08e, v23
	v_add_f16_e32 v11, v12, v11
	v_fma_f16 v12, v30, s10, -v72
	v_sub_f16_e32 v32, v32, v33
	v_add_f16_e32 v11, v12, v11
	v_fma_f16 v12, v21, s9, v73
	v_add_f16_e32 v31, v32, v31
	v_mul_f16_e32 v32, 0xb93d, v27
	v_add_f16_e32 v12, v20, v12
	v_fma_f16 v13, v22, s11, v75
	v_sub_f16_e32 v32, v32, v34
	v_add_f16_e32 v12, v13, v12
	v_fma_f16 v13, v23, s8, v76
	v_add_f16_e32 v31, v32, v31
	v_mul_f16_e32 v32, 0xbbad, v28
	v_add_f16_e32 v12, v13, v12
	v_fma_f16 v13, v27, s7, v77
	v_sub_f16_e32 v32, v32, v40
	v_add_f16_e32 v12, v13, v12
	v_fma_f16 v13, v28, s10, v78
	v_add_f16_e32 v31, v32, v31
	v_fma_f16 v32, v24, s11, -v51
	v_add_f16_e32 v12, v13, v12
	v_fma_f16 v13, v24, s8, -v42
	v_add_f16_sdwa v32, v20, v32 dst_sel:DWORD dst_unused:UNUSED_PAD src0_sel:WORD_1 src1_sel:DWORD
	v_fma_f16 v33, v25, s7, -v53
	v_add_f16_sdwa v13, v20, v13 dst_sel:DWORD dst_unused:UNUSED_PAD src0_sel:WORD_1 src1_sel:DWORD
	v_fma_f16 v14, v25, s10, -v43
	v_add_f16_e32 v32, v33, v32
	v_fma_f16 v33, v26, s10, -v54
	v_add_f16_e32 v13, v14, v13
	;; [unrolled: 2-line block ×7, first 2 shown]
	v_fma_f16 v33, v21, s11, v57
	v_add_f16_e32 v13, v14, v13
	v_fma_f16 v14, v21, s8, v35
	v_add_f16_e32 v33, v20, v33
	v_add_f16_e32 v14, v20, v14
	v_fma_f16 v20, v22, s10, v38
	v_add_f16_e32 v14, v20, v14
	v_fma_f16 v20, v23, s11, v41
	;; [unrolled: 2-line block ×3, first 2 shown]
	v_fma_f16 v34, v22, s7, v59
	v_add_f16_e32 v14, v20, v14
	v_fma_f16 v20, v28, s7, v48
	v_add_f16_e32 v33, v34, v33
	;; [unrolled: 2-line block ×3, first 2 shown]
	v_mul_u32_u24_e32 v20, 40, v2
	v_add_f16_e32 v33, v34, v33
	v_fma_f16 v15, v27, s8, v15
	v_add3_u32 v4, v4, v20, v17
	v_pack_b32_f16 v20, v31, v36
	v_pack_b32_f16 v6, v61, v6
	v_add_f16_e32 v15, v15, v33
	v_fma_f16 v33, v28, s9, v62
	ds_write2_b32 v4, v6, v20 offset1:1
	v_pack_b32_f16 v6, v74, v68
	v_pack_b32_f16 v20, v80, v79
	v_add_f16_e32 v15, v33, v15
	ds_write2_b32 v4, v20, v6 offset0:2 offset1:3
	v_pack_b32_f16 v6, v58, v52
	v_pack_b32_f16 v8, v8, v10
	ds_write2_b32 v4, v8, v6 offset0:4 offset1:5
	v_pack_b32_f16 v6, v7, v9
	v_pack_b32_f16 v7, v15, v32
	;; [unrolled: 3-line block ×3, first 2 shown]
	ds_write2_b32 v4, v7, v6 offset0:8 offset1:9
	v_perm_b32 v6, v19, v5, s6
	ds_write_b32 v4, v6 offset:40
.LBB0_18:
	s_or_b64 exec, exec, s[2:3]
	s_movk_i32 s0, 0x75
	v_mul_lo_u16_sdwa v4, v2, s0 dst_sel:DWORD dst_unused:UNUSED_PAD src0_sel:BYTE_0 src1_sel:DWORD
	v_sub_u16_sdwa v6, v2, v4 dst_sel:DWORD dst_unused:UNUSED_PAD src0_sel:DWORD src1_sel:BYTE_1
	v_lshrrev_b16_e32 v6, 1, v6
	v_and_b32_e32 v6, 0x7f, v6
	v_add_u16_sdwa v4, v6, v4 dst_sel:DWORD dst_unused:UNUSED_PAD src0_sel:DWORD src1_sel:BYTE_1
	v_lshrrev_b16_e32 v28, 3, v4
	v_mul_lo_u16_e32 v4, 11, v28
	v_sub_u16_e32 v29, v2, v4
	v_mov_b32_e32 v4, 9
	v_mul_u32_u24_sdwa v4, v29, v4 dst_sel:DWORD dst_unused:UNUSED_PAD src0_sel:BYTE_0 src1_sel:DWORD
	v_lshlrev_b32_e32 v4, 2, v4
	s_waitcnt lgkmcnt(0)
	s_barrier
	global_load_dwordx4 v[6:9], v4, s[4:5]
	global_load_dwordx4 v[10:13], v4, s[4:5] offset:16
	global_load_dword v21, v4, s[4:5] offset:32
	ds_read2_b32 v[14:15], v3 offset0:33 offset1:66
	ds_read2_b32 v[22:23], v3 offset0:99 offset1:132
	;; [unrolled: 1-line block ×3, first 2 shown]
	v_add_u32_e32 v20, 0x200, v3
	ds_read_b32 v4, v18
	ds_read_b32 v30, v3 offset:1188
	ds_read2_b32 v[26:27], v20 offset0:103 offset1:136
	s_mov_b32 s0, 0x7060302
	s_waitcnt lgkmcnt(3)
	v_lshrrev_b32_e32 v32, 16, v25
	v_perm_b32 v34, v23, v15, s6
	v_lshrrev_b32_e32 v36, 16, v22
	v_perm_b32 v38, v24, v22, s0
	v_perm_b32 v39, v24, v22, s6
	s_waitcnt lgkmcnt(0)
	v_lshrrev_b32_e32 v41, 16, v27
	v_lshrrev_b32_e32 v33, 16, v30
	v_perm_b32 v35, v23, v15, s0
	v_lshrrev_b32_e32 v37, 16, v24
	s_movk_i32 s1, 0x3b9c
	s_mov_b32 s7, 0xbb9c
	v_lshrrev_b32_e32 v40, 16, v26
	s_movk_i32 s2, 0x38b4
	s_mov_b32 s8, 0xb8b4
	s_movk_i32 s3, 0x34f2
	v_lshrrev_b32_e32 v31, 16, v4
	s_barrier
	s_waitcnt vmcnt(2)
	v_pk_mul_f16 v42, v6, v14
	v_mul_f16_sdwa v43, v6, v14 dst_sel:DWORD dst_unused:UNUSED_PAD src0_sel:DWORD src1_sel:WORD_1
	v_lshrrev_b32_e32 v6, 16, v6
	v_mul_f16_sdwa v45, v9, v23 dst_sel:DWORD dst_unused:UNUSED_PAD src0_sel:WORD_1 src1_sel:WORD_1
	v_perm_b32 v47, v9, v7, s0
	v_mul_f16_sdwa v22, v8, v22 dst_sel:DWORD dst_unused:UNUSED_PAD src0_sel:WORD_1 src1_sel:DWORD
	s_waitcnt vmcnt(1)
	v_mul_f16_sdwa v50, v32, v11 dst_sel:DWORD dst_unused:UNUSED_PAD src0_sel:DWORD src1_sel:WORD_1
	v_mul_f16_sdwa v44, v7, v15 dst_sel:DWORD dst_unused:UNUSED_PAD src0_sel:WORD_1 src1_sel:WORD_1
	v_perm_b32 v46, v9, v7, s6
	v_perm_b32 v48, v10, v8, s6
	;; [unrolled: 1-line block ×3, first 2 shown]
	v_mul_f16_sdwa v24, v10, v24 dst_sel:DWORD dst_unused:UNUSED_PAD src0_sel:WORD_1 src1_sel:DWORD
	v_mul_f16_sdwa v54, v41, v13 dst_sel:DWORD dst_unused:UNUSED_PAD src0_sel:DWORD src1_sel:WORD_1
	v_mul_f16_sdwa v55, v27, v13 dst_sel:DWORD dst_unused:UNUSED_PAD src0_sel:DWORD src1_sel:WORD_1
	v_fma_f16 v6, v6, v14, v43
	v_fma_f16 v9, v9, v23, -v45
	v_pk_mul_f16 v14, v47, v34
	v_fma_f16 v8, v8, v36, v22
	v_fma_f16 v22, v25, v11, -v50
	v_mul_f16_sdwa v51, v25, v11 dst_sel:DWORD dst_unused:UNUSED_PAD src0_sel:DWORD src1_sel:WORD_1
	s_waitcnt vmcnt(0)
	v_mul_f16_sdwa v56, v33, v21 dst_sel:DWORD dst_unused:UNUSED_PAD src0_sel:DWORD src1_sel:WORD_1
	v_fma_f16 v7, v7, v15, -v44
	v_fma_f16 v10, v10, v37, v24
	v_fma_f16 v24, v27, v13, -v54
	v_fma_f16 v13, v41, v13, v55
	v_pk_fma_f16 v14, v46, v35, v14
	v_add_f16_e32 v27, v9, v22
	v_mul_f16_sdwa v57, v30, v21 dst_sel:DWORD dst_unused:UNUSED_PAD src0_sel:DWORD src1_sel:WORD_1
	v_fma_f16 v11, v32, v11, v51
	v_fma_f16 v25, v30, v21, -v56
	v_sub_f16_e32 v30, v7, v9
	v_sub_f16_e32 v32, v24, v22
	v_fma_f16 v27, v27, -0.5, v4
	v_sub_f16_e32 v34, v14, v13
	v_mul_f16_sdwa v52, v40, v12 dst_sel:DWORD dst_unused:UNUSED_PAD src0_sel:DWORD src1_sel:WORD_1
	v_fma_f16 v21, v33, v21, v57
	v_add_f16_e32 v33, v7, v24
	v_sub_f16_sdwa v35, v14, v11 dst_sel:DWORD dst_unused:UNUSED_PAD src0_sel:WORD_1 src1_sel:DWORD
	v_add_f16_e32 v30, v30, v32
	v_fma_f16 v32, v34, s1, v27
	v_fma_f16 v27, v34, s7, v27
	v_mul_f16_sdwa v53, v26, v12 dst_sel:DWORD dst_unused:UNUSED_PAD src0_sel:DWORD src1_sel:WORD_1
	v_fma_f16 v23, v26, v12, -v52
	v_add_f16_e32 v26, v4, v7
	v_fma_f16 v4, v33, -0.5, v4
	v_fma_f16 v32, v35, s2, v32
	v_fma_f16 v27, v35, s8, v27
	;; [unrolled: 1-line block ×6, first 2 shown]
	v_add_f16_e32 v26, v26, v9
	v_fma_f16 v30, v34, s2, v30
	v_fma_f16 v4, v34, s8, v4
	v_add_f16_sdwa v34, v14, v11 dst_sel:DWORD dst_unused:UNUSED_PAD src0_sel:WORD_1 src1_sel:DWORD
	v_add_f16_e32 v26, v26, v22
	v_sub_f16_e32 v33, v9, v7
	v_fma_f16 v34, v34, -0.5, v31
	v_sub_f16_e32 v7, v7, v24
	v_add_f16_e32 v26, v26, v24
	v_sub_f16_e32 v36, v22, v24
	v_fma_f16 v24, v7, s7, v34
	v_sub_f16_e32 v9, v9, v22
	v_fma_f16 v22, v9, s8, v24
	v_sub_f16_sdwa v24, v14, v14 dst_sel:DWORD dst_unused:UNUSED_PAD src0_sel:DWORD src1_sel:WORD_1
	v_sub_f16_e32 v35, v13, v11
	v_fma_f16 v34, v7, s1, v34
	v_add_f16_e32 v33, v33, v36
	v_add_f16_e32 v24, v24, v35
	v_fma_f16 v34, v9, s2, v34
	v_fma_f16 v30, v33, s3, v30
	;; [unrolled: 1-line block ×3, first 2 shown]
	v_add_f16_e32 v33, v31, v14
	v_fma_f16 v22, v24, s3, v22
	v_fma_f16 v24, v24, s3, v34
	v_add_f16_e32 v34, v14, v13
	v_add_f16_sdwa v33, v33, v14 dst_sel:DWORD dst_unused:UNUSED_PAD src0_sel:DWORD src1_sel:WORD_1
	v_fma_f16 v31, v34, -0.5, v31
	v_pk_mul_f16 v15, v49, v38
	v_add_f16_e32 v33, v33, v11
	v_fma_f16 v34, v9, s1, v31
	v_sub_f16_sdwa v14, v14, v14 dst_sel:DWORD dst_unused:UNUSED_PAD src0_sel:WORD_1 src1_sel:DWORD
	v_sub_f16_e32 v11, v11, v13
	v_fma_f16 v9, v9, s7, v31
	v_pk_fma_f16 v15, v48, v39, v15 neg_lo:[0,0,1] neg_hi:[0,0,1]
	v_fma_f16 v34, v7, s8, v34
	v_add_f16_e32 v11, v14, v11
	v_fma_f16 v7, v7, s2, v9
	v_sub_f16_sdwa v42, v42, v42 dst_sel:DWORD dst_unused:UNUSED_PAD src0_sel:DWORD src1_sel:WORD_1
	v_add_f16_e32 v33, v33, v13
	v_fma_f16 v13, v11, s3, v34
	v_fma_f16 v7, v11, s3, v7
	v_add_f16_sdwa v11, v15, v23 dst_sel:DWORD dst_unused:UNUSED_PAD src0_sel:WORD_1 src1_sel:DWORD
	v_fma_f16 v12, v40, v12, v53
	v_fma_f16 v11, v11, -0.5, v42
	v_sub_f16_e32 v14, v8, v21
	v_fma_f16 v31, v14, s1, v11
	v_sub_f16_e32 v34, v10, v12
	v_sub_f16_sdwa v35, v15, v15 dst_sel:DWORD dst_unused:UNUSED_PAD src0_sel:DWORD src1_sel:WORD_1
	v_sub_f16_e32 v36, v25, v23
	v_fma_f16 v11, v14, s7, v11
	v_fma_f16 v31, v34, s2, v31
	v_add_f16_e32 v35, v35, v36
	v_fma_f16 v11, v34, s8, v11
	v_add_f16_e32 v9, v42, v15
	v_fma_f16 v31, v35, s3, v31
	v_fma_f16 v11, v35, s3, v11
	v_add_f16_e32 v35, v15, v25
	v_add_f16_sdwa v9, v9, v15 dst_sel:DWORD dst_unused:UNUSED_PAD src0_sel:DWORD src1_sel:WORD_1
	v_fma_f16 v35, v35, -0.5, v42
	v_add_f16_e32 v9, v9, v23
	v_fma_f16 v36, v34, s7, v35
	v_sub_f16_sdwa v37, v15, v15 dst_sel:DWORD dst_unused:UNUSED_PAD src0_sel:WORD_1 src1_sel:DWORD
	v_sub_f16_e32 v38, v23, v25
	v_fma_f16 v34, v34, s1, v35
	v_add_f16_e32 v35, v10, v12
	v_add_f16_e32 v9, v9, v25
	v_fma_f16 v36, v14, s2, v36
	v_add_f16_e32 v37, v37, v38
	v_fma_f16 v14, v14, s8, v34
	v_fma_f16 v35, v35, -0.5, v6
	v_sub_f16_e32 v25, v15, v25
	v_fma_f16 v36, v37, s3, v36
	v_fma_f16 v14, v37, s3, v14
	;; [unrolled: 1-line block ×3, first 2 shown]
	v_sub_f16_sdwa v15, v15, v23 dst_sel:DWORD dst_unused:UNUSED_PAD src0_sel:WORD_1 src1_sel:DWORD
	v_fma_f16 v23, v15, s8, v37
	v_sub_f16_e32 v37, v8, v10
	v_sub_f16_e32 v38, v21, v12
	v_fma_f16 v35, v25, s1, v35
	v_add_f16_e32 v37, v37, v38
	v_fma_f16 v35, v15, s2, v35
	v_fma_f16 v23, v37, s3, v23
	v_fma_f16 v35, v37, s3, v35
	v_add_f16_e32 v37, v8, v21
	v_add_f16_e32 v34, v6, v8
	v_fma_f16 v6, v37, -0.5, v6
	v_add_f16_e32 v34, v34, v10
	v_fma_f16 v37, v15, s1, v6
	v_sub_f16_e32 v8, v10, v8
	v_sub_f16_e32 v10, v12, v21
	v_fma_f16 v37, v25, s8, v37
	v_add_f16_e32 v8, v8, v10
	v_fma_f16 v6, v15, s7, v6
	v_add_f16_e32 v34, v34, v12
	v_fma_f16 v10, v8, s3, v37
	v_fma_f16 v6, v25, s2, v6
	v_mul_f16_e32 v39, 0x3a79, v11
	v_add_f16_e32 v34, v34, v21
	v_fma_f16 v6, v8, s3, v6
	v_mul_f16_e32 v12, 0x38b4, v23
	s_movk_i32 s0, 0x3a79
	v_mul_f16_e32 v21, 0x3b9c, v10
	v_mul_f16_e32 v37, 0x34f2, v14
	v_fma_f16 v39, v35, s2, -v39
	v_mul_f16_e32 v35, 0x3a79, v35
	v_fma_f16 v12, v31, s0, v12
	v_fma_f16 v21, v36, s3, v21
	v_fma_f16 v37, v6, s1, -v37
	v_mul_f16_e32 v31, 0xb8b4, v31
	v_mul_f16_e32 v6, 0x34f2, v6
	v_fma_f16 v11, v11, s8, -v35
	v_add_f16_e32 v8, v26, v9
	v_add_f16_e32 v25, v30, v21
	v_fma_f16 v23, v23, s0, v31
	v_mul_f16_e32 v36, 0xbb9c, v36
	v_fma_f16 v6, v14, s7, -v6
	v_add_f16_e32 v35, v24, v11
	v_sub_f16_e32 v9, v26, v9
	v_sub_f16_e32 v26, v30, v21
	;; [unrolled: 1-line block ×3, first 2 shown]
	s_movk_i32 s0, 0x1b8
	v_mov_b32_e32 v11, 2
	v_add_f16_e32 v15, v32, v12
	v_add_f16_e32 v41, v33, v34
	;; [unrolled: 1-line block ×3, first 2 shown]
	v_fma_f16 v10, v10, s3, v36
	v_add_f16_e32 v14, v7, v6
	v_sub_f16_e32 v6, v7, v6
	v_mad_u32_u24 v7, v28, s0, 0
	v_lshlrev_b32_sdwa v11, v11, v29 dst_sel:DWORD dst_unused:UNUSED_PAD src0_sel:DWORD src1_sel:BYTE_0
	v_add_f16_e32 v38, v4, v37
	v_add_f16_e32 v36, v13, v10
	v_add3_u32 v7, v7, v11, v17
	v_pack_b32_f16 v8, v8, v41
	v_pack_b32_f16 v11, v15, v31
	v_add_f16_e32 v40, v27, v39
	v_sub_f16_e32 v30, v4, v37
	v_sub_f16_e32 v4, v27, v39
	;; [unrolled: 1-line block ×3, first 2 shown]
	ds_write2_b32 v7, v8, v11 offset1:11
	v_pack_b32_f16 v8, v25, v36
	v_pack_b32_f16 v11, v38, v14
	v_sub_f16_e32 v12, v32, v12
	v_sub_f16_e32 v22, v22, v23
	;; [unrolled: 1-line block ×3, first 2 shown]
	ds_write2_b32 v7, v8, v11 offset0:22 offset1:33
	v_pack_b32_f16 v8, v40, v35
	v_pack_b32_f16 v9, v9, v27
	ds_write2_b32 v7, v8, v9 offset0:44 offset1:55
	v_pack_b32_f16 v8, v12, v22
	v_pack_b32_f16 v9, v26, v10
	;; [unrolled: 3-line block ×3, first 2 shown]
	ds_write2_b32 v7, v6, v8 offset0:88 offset1:99
	s_waitcnt lgkmcnt(0)
	s_barrier
	ds_read_b32 v22, v18
	ds_read2_b32 v[12:13], v3 offset0:110 offset1:143
	ds_read2_b32 v[10:11], v3 offset0:176 offset1:220
	;; [unrolled: 1-line block ×4, first 2 shown]
	v_cmp_gt_u32_e64 s[0:1], 11, v2
                                        ; implicit-def: $vgpr17
                                        ; implicit-def: $vgpr18
	s_and_saveexec_b64 s[2:3], s[0:1]
	s_cbranch_execz .LBB0_20
; %bb.19:
	ds_read2_b32 v[4:5], v3 offset0:99 offset1:209
	ds_read_b32 v18, v3 offset:1276
	s_waitcnt lgkmcnt(1)
	v_lshrrev_b32_e32 v21, 16, v4
	s_waitcnt lgkmcnt(0)
	v_lshrrev_b32_e32 v17, 16, v18
	v_lshrrev_b32_e32 v19, 16, v5
.LBB0_20:
	s_or_b64 exec, exec, s[2:3]
	v_lshlrev_b32_e32 v8, 1, v2
	v_mov_b32_e32 v9, 0
	v_lshl_add_u64 v[24:25], v[8:9], 2, s[4:5]
	v_add_u32_e32 v26, 0x42, v8
	v_mov_b32_e32 v27, v9
	v_add_u32_e32 v8, 0x84, v8
	global_load_dwordx2 v[24:25], v[24:25], off offset:396
	v_lshl_add_u64 v[26:27], v[26:27], 2, s[4:5]
	global_load_dwordx2 v[26:27], v[26:27], off offset:396
	v_lshl_add_u64 v[28:29], v[8:9], 2, s[4:5]
	global_load_dwordx2 v[28:29], v[28:29], off offset:396
	s_waitcnt lgkmcnt(2)
	v_lshrrev_b32_e32 v35, 16, v11
	v_lshrrev_b32_e32 v36, 16, v12
	;; [unrolled: 1-line block ×3, first 2 shown]
	s_waitcnt lgkmcnt(0)
	v_lshrrev_b32_e32 v33, 16, v14
	v_lshrrev_b32_e32 v34, 16, v13
	;; [unrolled: 1-line block ×5, first 2 shown]
	s_movk_i32 s6, 0x3aee
	s_mov_b32 s7, 0xbaee
	v_lshrrev_b32_e32 v30, 16, v7
	s_barrier
	s_waitcnt vmcnt(2)
	v_mul_f16_sdwa v37, v24, v36 dst_sel:DWORD dst_unused:UNUSED_PAD src0_sel:WORD_1 src1_sel:DWORD
	v_mul_f16_sdwa v38, v24, v12 dst_sel:DWORD dst_unused:UNUSED_PAD src0_sel:WORD_1 src1_sel:DWORD
	;; [unrolled: 1-line block ×4, first 2 shown]
	v_fma_f16 v12, v24, v12, -v37
	v_fma_f16 v24, v24, v36, v38
	v_fma_f16 v11, v25, v11, -v39
	v_fma_f16 v25, v25, v35, v40
	s_waitcnt vmcnt(1)
	v_mul_f16_sdwa v35, v26, v34 dst_sel:DWORD dst_unused:UNUSED_PAD src0_sel:WORD_1 src1_sel:DWORD
	v_mul_f16_sdwa v36, v26, v13 dst_sel:DWORD dst_unused:UNUSED_PAD src0_sel:WORD_1 src1_sel:DWORD
	;; [unrolled: 1-line block ×4, first 2 shown]
	s_waitcnt vmcnt(0)
	v_mul_f16_sdwa v39, v28, v32 dst_sel:DWORD dst_unused:UNUSED_PAD src0_sel:WORD_1 src1_sel:DWORD
	v_mul_f16_sdwa v40, v28, v10 dst_sel:DWORD dst_unused:UNUSED_PAD src0_sel:WORD_1 src1_sel:DWORD
	;; [unrolled: 1-line block ×4, first 2 shown]
	v_fma_f16 v13, v26, v13, -v35
	v_fma_f16 v26, v26, v34, v36
	v_fma_f16 v14, v27, v14, -v37
	v_fma_f16 v27, v27, v33, v38
	;; [unrolled: 2-line block ×3, first 2 shown]
	v_add_f16_e32 v32, v12, v11
	v_sub_f16_e32 v33, v24, v25
	v_add_f16_e32 v34, v8, v24
	v_add_f16_e32 v24, v24, v25
	v_fma_f16 v15, v29, v15, -v41
	v_fma_f16 v29, v29, v31, v42
	v_add_f16_e32 v31, v22, v12
	v_sub_f16_e32 v12, v12, v11
	v_fma_f16 v22, v32, -0.5, v22
	v_fma_f16 v8, v24, -0.5, v8
	v_add_f16_e32 v25, v34, v25
	v_add_f16_e32 v24, v6, v13
	;; [unrolled: 1-line block ×3, first 2 shown]
	v_fma_f16 v39, v33, s6, v22
	v_fma_f16 v22, v33, s7, v22
	;; [unrolled: 1-line block ×4, first 2 shown]
	v_add_f16_e32 v11, v31, v11
	v_add_f16_e32 v31, v13, v14
	v_sub_f16_e32 v32, v26, v27
	v_add_f16_e32 v26, v26, v27
	v_sub_f16_e32 v13, v13, v14
	v_add_f16_e32 v35, v7, v10
	v_add_f16_e32 v36, v10, v15
	v_sub_f16_e32 v37, v28, v29
	v_add_f16_e32 v38, v30, v28
	v_add_f16_e32 v28, v28, v29
	;; [unrolled: 1-line block ×4, first 2 shown]
	v_pack_b32_f16 v8, v22, v8
	v_sub_f16_e32 v10, v10, v15
	v_fma_f16 v6, v31, -0.5, v6
	v_fma_f16 v23, v26, -0.5, v23
	v_add_f16_e32 v15, v35, v15
	v_fma_f16 v7, v36, -0.5, v7
	v_add_f16_e32 v24, v38, v29
	v_fma_f16 v26, v28, -0.5, v30
	v_pack_b32_f16 v11, v11, v25
	ds_write_b32 v3, v8 offset:880
	v_pack_b32_f16 v8, v12, v14
	v_fma_f16 v27, v32, s6, v6
	v_fma_f16 v6, v32, s7, v6
	;; [unrolled: 1-line block ×8, first 2 shown]
	v_pack_b32_f16 v25, v39, v33
	ds_write2_b32 v3, v11, v8 offset1:33
	v_pack_b32_f16 v11, v15, v24
	v_pack_b32_f16 v8, v27, v28
	;; [unrolled: 1-line block ×3, first 2 shown]
	ds_write2_b32 v3, v11, v25 offset0:66 offset1:110
	v_pack_b32_f16 v11, v23, v29
	v_pack_b32_f16 v7, v7, v10
	ds_write2_b32 v3, v8, v11 offset0:143 offset1:176
	ds_write2_b32 v20, v6, v7 offset0:125 offset1:158
	s_and_saveexec_b64 s[2:3], s[0:1]
	s_cbranch_execz .LBB0_22
; %bb.21:
	v_mov_b32_e32 v6, 0x63
	v_cndmask_b32_e64 v6, -11, v6, s[0:1]
	v_add_lshl_u32 v8, v2, v6, 1
	v_lshl_add_u64 v[6:7], v[8:9], 2, s[4:5]
	global_load_dwordx2 v[6:7], v[6:7], off offset:396
	s_waitcnt vmcnt(0)
	v_mul_f16_sdwa v8, v19, v6 dst_sel:DWORD dst_unused:UNUSED_PAD src0_sel:DWORD src1_sel:WORD_1
	v_mul_f16_sdwa v9, v17, v7 dst_sel:DWORD dst_unused:UNUSED_PAD src0_sel:DWORD src1_sel:WORD_1
	;; [unrolled: 1-line block ×4, first 2 shown]
	v_fma_f16 v5, v5, v6, -v8
	v_fma_f16 v8, v18, v7, -v9
	v_fma_f16 v6, v19, v6, v10
	v_fma_f16 v7, v17, v7, v11
	v_add_f16_e32 v10, v6, v7
	v_add_f16_e32 v12, v5, v8
	v_sub_f16_e32 v9, v5, v8
	v_add_f16_e32 v11, v21, v6
	v_sub_f16_e32 v6, v6, v7
	v_add_f16_e32 v5, v4, v5
	v_fma_f16 v10, v10, -0.5, v21
	v_fma_f16 v4, v12, -0.5, v4
	v_add_f16_e32 v7, v11, v7
	v_add_f16_e32 v5, v5, v8
	v_fma_f16 v8, v9, s6, v10
	v_fma_f16 v9, v9, s7, v10
	;; [unrolled: 1-line block ×4, first 2 shown]
	v_pack_b32_f16 v5, v5, v7
	v_pack_b32_f16 v4, v4, v9
	;; [unrolled: 1-line block ×3, first 2 shown]
	ds_write2_b32 v3, v5, v4 offset0:99 offset1:209
	ds_write_b32 v3, v6 offset:1276
.LBB0_22:
	s_or_b64 exec, exec, s[2:3]
	s_waitcnt lgkmcnt(0)
	s_barrier
	s_and_saveexec_b64 s[0:1], vcc
	s_cbranch_execz .LBB0_24
; %bb.23:
	v_lshl_add_u32 v10, v2, 2, v16
	ds_read2_b32 v[4:5], v10 offset1:33
	v_mov_b32_e32 v3, 0
	v_lshl_add_u64 v[8:9], v[2:3], 2, v[0:1]
	v_add_u32_e32 v6, 33, v2
	v_mov_b32_e32 v7, v3
	s_waitcnt lgkmcnt(0)
	global_store_dword v[8:9], v4, off
	ds_read2_b32 v[8:9], v10 offset0:66 offset1:99
	v_lshl_add_u64 v[6:7], v[6:7], 2, v[0:1]
	global_store_dword v[6:7], v5, off
	v_add_u32_e32 v4, 0x42, v2
	v_mov_b32_e32 v5, v3
	v_lshl_add_u64 v[4:5], v[4:5], 2, v[0:1]
	ds_read2_b32 v[6:7], v10 offset0:132 offset1:165
	s_waitcnt lgkmcnt(1)
	global_store_dword v[4:5], v8, off
	v_add_u32_e32 v4, 0x63, v2
	v_mov_b32_e32 v5, v3
	v_lshl_add_u64 v[4:5], v[4:5], 2, v[0:1]
	global_store_dword v[4:5], v9, off
	v_add_u32_e32 v4, 0x84, v2
	v_mov_b32_e32 v5, v3
	v_lshl_add_u64 v[4:5], v[4:5], 2, v[0:1]
	ds_read2_b32 v[8:9], v10 offset0:198 offset1:231
	s_waitcnt lgkmcnt(1)
	global_store_dword v[4:5], v6, off
	v_add_u32_e32 v4, 0xa5, v2
	v_mov_b32_e32 v5, v3
	v_lshl_add_u64 v[4:5], v[4:5], 2, v[0:1]
	global_store_dword v[4:5], v7, off
	v_add_u32_e32 v4, 0xc6, v2
	v_mov_b32_e32 v5, v3
	v_add_u32_e32 v6, 0x400, v10
	v_lshl_add_u64 v[4:5], v[4:5], 2, v[0:1]
	ds_read2_b32 v[6:7], v6 offset0:8 offset1:41
	s_waitcnt lgkmcnt(1)
	global_store_dword v[4:5], v8, off
	v_add_u32_e32 v4, 0xe7, v2
	v_mov_b32_e32 v5, v3
	v_lshl_add_u64 v[4:5], v[4:5], 2, v[0:1]
	global_store_dword v[4:5], v9, off
	v_add_u32_e32 v4, 0x108, v2
	v_mov_b32_e32 v5, v3
	v_add_u32_e32 v2, 0x129, v2
	v_lshl_add_u64 v[4:5], v[4:5], 2, v[0:1]
	v_lshl_add_u64 v[0:1], v[2:3], 2, v[0:1]
	s_waitcnt lgkmcnt(0)
	global_store_dword v[4:5], v6, off
	global_store_dword v[0:1], v7, off
.LBB0_24:
	s_endpgm
	.section	.rodata,"a",@progbits
	.p2align	6, 0x0
	.amdhsa_kernel fft_rtc_fwd_len330_factors_11_10_3_wgs_99_tpt_33_half_ip_CI_unitstride_sbrr_C2R_dirReg
		.amdhsa_group_segment_fixed_size 0
		.amdhsa_private_segment_fixed_size 0
		.amdhsa_kernarg_size 88
		.amdhsa_user_sgpr_count 2
		.amdhsa_user_sgpr_dispatch_ptr 0
		.amdhsa_user_sgpr_queue_ptr 0
		.amdhsa_user_sgpr_kernarg_segment_ptr 1
		.amdhsa_user_sgpr_dispatch_id 0
		.amdhsa_user_sgpr_kernarg_preload_length 0
		.amdhsa_user_sgpr_kernarg_preload_offset 0
		.amdhsa_user_sgpr_private_segment_size 0
		.amdhsa_uses_dynamic_stack 0
		.amdhsa_enable_private_segment 0
		.amdhsa_system_sgpr_workgroup_id_x 1
		.amdhsa_system_sgpr_workgroup_id_y 0
		.amdhsa_system_sgpr_workgroup_id_z 0
		.amdhsa_system_sgpr_workgroup_info 0
		.amdhsa_system_vgpr_workitem_id 0
		.amdhsa_next_free_vgpr 82
		.amdhsa_next_free_sgpr 22
		.amdhsa_accum_offset 84
		.amdhsa_reserve_vcc 1
		.amdhsa_float_round_mode_32 0
		.amdhsa_float_round_mode_16_64 0
		.amdhsa_float_denorm_mode_32 3
		.amdhsa_float_denorm_mode_16_64 3
		.amdhsa_dx10_clamp 1
		.amdhsa_ieee_mode 1
		.amdhsa_fp16_overflow 0
		.amdhsa_tg_split 0
		.amdhsa_exception_fp_ieee_invalid_op 0
		.amdhsa_exception_fp_denorm_src 0
		.amdhsa_exception_fp_ieee_div_zero 0
		.amdhsa_exception_fp_ieee_overflow 0
		.amdhsa_exception_fp_ieee_underflow 0
		.amdhsa_exception_fp_ieee_inexact 0
		.amdhsa_exception_int_div_zero 0
	.end_amdhsa_kernel
	.text
.Lfunc_end0:
	.size	fft_rtc_fwd_len330_factors_11_10_3_wgs_99_tpt_33_half_ip_CI_unitstride_sbrr_C2R_dirReg, .Lfunc_end0-fft_rtc_fwd_len330_factors_11_10_3_wgs_99_tpt_33_half_ip_CI_unitstride_sbrr_C2R_dirReg
                                        ; -- End function
	.section	.AMDGPU.csdata,"",@progbits
; Kernel info:
; codeLenInByte = 7664
; NumSgprs: 28
; NumVgprs: 82
; NumAgprs: 0
; TotalNumVgprs: 82
; ScratchSize: 0
; MemoryBound: 0
; FloatMode: 240
; IeeeMode: 1
; LDSByteSize: 0 bytes/workgroup (compile time only)
; SGPRBlocks: 3
; VGPRBlocks: 10
; NumSGPRsForWavesPerEU: 28
; NumVGPRsForWavesPerEU: 82
; AccumOffset: 84
; Occupancy: 5
; WaveLimiterHint : 1
; COMPUTE_PGM_RSRC2:SCRATCH_EN: 0
; COMPUTE_PGM_RSRC2:USER_SGPR: 2
; COMPUTE_PGM_RSRC2:TRAP_HANDLER: 0
; COMPUTE_PGM_RSRC2:TGID_X_EN: 1
; COMPUTE_PGM_RSRC2:TGID_Y_EN: 0
; COMPUTE_PGM_RSRC2:TGID_Z_EN: 0
; COMPUTE_PGM_RSRC2:TIDIG_COMP_CNT: 0
; COMPUTE_PGM_RSRC3_GFX90A:ACCUM_OFFSET: 20
; COMPUTE_PGM_RSRC3_GFX90A:TG_SPLIT: 0
	.text
	.p2alignl 6, 3212836864
	.fill 256, 4, 3212836864
	.type	__hip_cuid_9a78648d4ff239f0,@object ; @__hip_cuid_9a78648d4ff239f0
	.section	.bss,"aw",@nobits
	.globl	__hip_cuid_9a78648d4ff239f0
__hip_cuid_9a78648d4ff239f0:
	.byte	0                               ; 0x0
	.size	__hip_cuid_9a78648d4ff239f0, 1

	.ident	"AMD clang version 19.0.0git (https://github.com/RadeonOpenCompute/llvm-project roc-6.4.0 25133 c7fe45cf4b819c5991fe208aaa96edf142730f1d)"
	.section	".note.GNU-stack","",@progbits
	.addrsig
	.addrsig_sym __hip_cuid_9a78648d4ff239f0
	.amdgpu_metadata
---
amdhsa.kernels:
  - .agpr_count:     0
    .args:
      - .actual_access:  read_only
        .address_space:  global
        .offset:         0
        .size:           8
        .value_kind:     global_buffer
      - .offset:         8
        .size:           8
        .value_kind:     by_value
      - .actual_access:  read_only
        .address_space:  global
        .offset:         16
        .size:           8
        .value_kind:     global_buffer
      - .actual_access:  read_only
        .address_space:  global
        .offset:         24
        .size:           8
        .value_kind:     global_buffer
      - .offset:         32
        .size:           8
        .value_kind:     by_value
      - .actual_access:  read_only
        .address_space:  global
        .offset:         40
        .size:           8
        .value_kind:     global_buffer
      - .actual_access:  read_only
        .address_space:  global
        .offset:         48
        .size:           8
        .value_kind:     global_buffer
      - .offset:         56
        .size:           4
        .value_kind:     by_value
      - .actual_access:  read_only
        .address_space:  global
        .offset:         64
        .size:           8
        .value_kind:     global_buffer
      - .actual_access:  read_only
        .address_space:  global
        .offset:         72
        .size:           8
        .value_kind:     global_buffer
      - .address_space:  global
        .offset:         80
        .size:           8
        .value_kind:     global_buffer
    .group_segment_fixed_size: 0
    .kernarg_segment_align: 8
    .kernarg_segment_size: 88
    .language:       OpenCL C
    .language_version:
      - 2
      - 0
    .max_flat_workgroup_size: 99
    .name:           fft_rtc_fwd_len330_factors_11_10_3_wgs_99_tpt_33_half_ip_CI_unitstride_sbrr_C2R_dirReg
    .private_segment_fixed_size: 0
    .sgpr_count:     28
    .sgpr_spill_count: 0
    .symbol:         fft_rtc_fwd_len330_factors_11_10_3_wgs_99_tpt_33_half_ip_CI_unitstride_sbrr_C2R_dirReg.kd
    .uniform_work_group_size: 1
    .uses_dynamic_stack: false
    .vgpr_count:     82
    .vgpr_spill_count: 0
    .wavefront_size: 64
amdhsa.target:   amdgcn-amd-amdhsa--gfx950
amdhsa.version:
  - 1
  - 2
...

	.end_amdgpu_metadata
